;; amdgpu-corpus repo=ROCm/rocFFT kind=compiled arch=gfx950 opt=O3
	.text
	.amdgcn_target "amdgcn-amd-amdhsa--gfx950"
	.amdhsa_code_object_version 6
	.protected	fft_rtc_back_len54_factors_3_3_6_wgs_60_tpt_6_dim1_sp_op_CI_CI_unitstride_sbrr_R2C_dirReg ; -- Begin function fft_rtc_back_len54_factors_3_3_6_wgs_60_tpt_6_dim1_sp_op_CI_CI_unitstride_sbrr_R2C_dirReg
	.globl	fft_rtc_back_len54_factors_3_3_6_wgs_60_tpt_6_dim1_sp_op_CI_CI_unitstride_sbrr_R2C_dirReg
	.p2align	8
	.type	fft_rtc_back_len54_factors_3_3_6_wgs_60_tpt_6_dim1_sp_op_CI_CI_unitstride_sbrr_R2C_dirReg,@function
fft_rtc_back_len54_factors_3_3_6_wgs_60_tpt_6_dim1_sp_op_CI_CI_unitstride_sbrr_R2C_dirReg: ; @fft_rtc_back_len54_factors_3_3_6_wgs_60_tpt_6_dim1_sp_op_CI_CI_unitstride_sbrr_R2C_dirReg
; %bb.0:
	v_mul_u32_u24_e32 v1, 0x2aab, v0
	v_lshrrev_b32_e32 v2, 16, v1
	s_load_dwordx2 s[8:9], s[0:1], 0x0
	s_load_dwordx2 s[6:7], s[0:1], 0x20
	v_mad_u64_u32 v[18:19], s[2:3], s2, 10, v[2:3]
	s_mov_b32 s2, 0xcccccccd
	s_nop 0
	v_mul_hi_u32 v1, v18, s2
	v_lshrrev_b32_e32 v1, 3, v1
	v_mov_b32_e32 v19, 0
	v_mul_lo_u32 v1, v1, 10
	s_movk_i32 s4, 0x2aab
	v_sub_u32_e32 v1, v18, v1
	s_waitcnt lgkmcnt(0)
	v_cmp_gt_u64_e32 vcc, s[6:7], v[18:19]
	v_cmp_le_u64_e64 s[2:3], s[6:7], v[18:19]
                                        ; implicit-def: $vgpr17
                                        ; implicit-def: $vgpr16
                                        ; implicit-def: $vgpr22
                                        ; implicit-def: $vgpr20
	s_and_saveexec_b64 s[6:7], s[2:3]
	s_xor_b64 s[2:3], exec, s[6:7]
; %bb.1:
	v_mul_u32_u24_sdwa v2, v0, s4 dst_sel:DWORD dst_unused:UNUSED_PAD src0_sel:WORD_0 src1_sel:DWORD
	v_mov_b32_e32 v3, 6
	v_mul_lo_u16_sdwa v2, v2, v3 dst_sel:DWORD dst_unused:UNUSED_PAD src0_sel:WORD_1 src1_sel:DWORD
	v_sub_u16_e32 v16, v0, v2
	v_sub_u16_e32 v17, v0, v2
	v_add_u32_e32 v22, 6, v16
	v_add_u32_e32 v20, 12, v16
                                        ; implicit-def: $vgpr2
                                        ; implicit-def: $vgpr0
; %bb.2:
	s_or_saveexec_b64 s[2:3], s[2:3]
	s_load_dwordx2 s[4:5], s[0:1], 0x18
	v_mul_u32_u24_e32 v1, 55, v1
	v_lshlrev_b32_e32 v1, 3, v1
	s_xor_b64 exec, exec, s[2:3]
	s_cbranch_execz .LBB0_4
; %bb.3:
	s_load_dwordx2 s[6:7], s[0:1], 0x10
	s_load_dwordx2 s[10:11], s[0:1], 0x50
	v_mul_lo_u16_e32 v17, 6, v2
	v_sub_u16_e32 v16, v0, v17
	v_mov_b32_e32 v3, 0
	s_waitcnt lgkmcnt(0)
	s_load_dwordx2 s[6:7], s[6:7], 0x8
	v_lshlrev_b32_e32 v2, 3, v16
	v_sub_u16_e32 v17, v0, v17
	v_add_u32_e32 v22, 6, v16
	v_add_u32_e32 v20, 12, v16
	s_waitcnt lgkmcnt(0)
	v_mad_u64_u32 v[4:5], s[12:13], s6, v18, 0
	v_mov_b32_e32 v6, v5
	v_mad_u64_u32 v[6:7], s[6:7], s7, v18, v[6:7]
	v_mov_b32_e32 v5, v6
	v_lshl_add_u64 v[4:5], v[4:5], 3, s[10:11]
	v_lshl_add_u64 v[4:5], v[4:5], 0, v[2:3]
	global_load_dwordx2 v[6:7], v[4:5], off
	global_load_dwordx2 v[8:9], v[4:5], off offset:48
	global_load_dwordx2 v[10:11], v[4:5], off offset:96
	;; [unrolled: 1-line block ×8, first 2 shown]
	v_add3_u32 v0, 0, v1, v2
	s_waitcnt vmcnt(7)
	ds_write2_b64 v0, v[6:7], v[8:9] offset1:6
	s_waitcnt vmcnt(5)
	ds_write2_b64 v0, v[10:11], v[12:13] offset0:12 offset1:18
	s_waitcnt vmcnt(3)
	ds_write2_b64 v0, v[14:15], v[24:25] offset0:24 offset1:30
	;; [unrolled: 2-line block ×3, first 2 shown]
	s_waitcnt vmcnt(0)
	ds_write_b64 v0, v[30:31] offset:384
.LBB0_4:
	s_or_b64 exec, exec, s[2:3]
	v_add_u32_e32 v19, 0, v1
	v_lshlrev_b32_e32 v21, 3, v16
	v_add_u32_e32 v34, v19, v21
	v_add3_u32 v23, 0, v21, v1
	s_waitcnt lgkmcnt(0)
	s_load_dwordx2 s[6:7], s[4:5], 0x8
	s_waitcnt lgkmcnt(0)
	; wave barrier
	s_waitcnt lgkmcnt(0)
	ds_read2_b64 v[2:5], v23 offset0:6 offset1:12
	ds_read2_b64 v[6:9], v23 offset0:30 offset1:36
	;; [unrolled: 1-line block ×4, first 2 shown]
	ds_read_b64 v[14:15], v34
	s_mov_b32 s10, 0x3f5db3d7
	v_lshl_add_u32 v0, v16, 4, v23
	s_waitcnt lgkmcnt(0)
	v_pk_add_f32 v[36:37], v[24:25], v[8:9]
	v_pk_add_f32 v[32:33], v[14:15], v[24:25]
	v_pk_fma_f32 v[14:15], v[36:37], 0.5, v[14:15] op_sel_hi:[1,0,1] neg_lo:[1,0,0] neg_hi:[1,0,0]
	v_pk_add_f32 v[32:33], v[32:33], v[8:9]
	v_pk_add_f32 v[8:9], v[24:25], v[8:9] neg_lo:[0,1] neg_hi:[0,1]
	; wave barrier
	s_nop 0
	v_pk_mul_f32 v[8:9], v[8:9], s[10:11] op_sel_hi:[1,0]
	v_pk_add_f32 v[30:31], v[2:3], v[26:27]
	v_pk_add_f32 v[24:25], v[14:15], v[8:9] op_sel:[0,1] op_sel_hi:[1,0] neg_lo:[0,1] neg_hi:[0,1]
	v_pk_add_f32 v[8:9], v[14:15], v[8:9] op_sel:[0,1] op_sel_hi:[1,0]
	v_pk_add_f32 v[30:31], v[30:31], v[10:11]
	v_mov_b32_e32 v15, v9
	v_mov_b32_e32 v9, v25
	ds_write_b64 v0, v[8:9] offset:16
	v_pk_add_f32 v[8:9], v[26:27], v[10:11]
	v_mad_i32_i24 v38, v22, 24, v19
	v_pk_fma_f32 v[2:3], v[8:9], 0.5, v[2:3] op_sel_hi:[1,0,1] neg_lo:[1,0,0] neg_hi:[1,0,0]
	v_pk_add_f32 v[8:9], v[26:27], v[10:11] neg_lo:[0,1] neg_hi:[0,1]
	v_mov_b32_e32 v14, v24
	v_pk_mul_f32 v[8:9], v[8:9], s[10:11] op_sel_hi:[1,0]
	ds_write2_b64 v0, v[32:33], v[14:15] offset1:1
	v_pk_add_f32 v[10:11], v[2:3], v[8:9] op_sel:[0,1] op_sel_hi:[1,0] neg_lo:[0,1] neg_hi:[0,1]
	v_pk_add_f32 v[2:3], v[2:3], v[8:9] op_sel:[0,1] op_sel_hi:[1,0]
	v_pk_add_f32 v[28:29], v[4:5], v[6:7]
	v_mov_b32_e32 v9, v3
	v_mov_b32_e32 v3, v11
	ds_write_b64 v38, v[2:3] offset:16
	v_pk_add_f32 v[2:3], v[6:7], v[12:13]
	v_mad_i32_i24 v39, v20, 24, v19
	v_pk_fma_f32 v[2:3], v[2:3], 0.5, v[4:5] op_sel_hi:[1,0,1] neg_lo:[1,0,0] neg_hi:[1,0,0]
	v_pk_add_f32 v[4:5], v[6:7], v[12:13] neg_lo:[0,1] neg_hi:[0,1]
	v_mov_b32_e32 v8, v10
	v_pk_mul_f32 v[4:5], v[4:5], s[10:11] op_sel_hi:[1,0]
	s_movk_i32 s2, 0xab
	v_pk_add_f32 v[6:7], v[2:3], v[4:5] op_sel:[0,1] op_sel_hi:[1,0] neg_lo:[0,1] neg_hi:[0,1]
	v_pk_add_f32 v[2:3], v[2:3], v[4:5] op_sel:[0,1] op_sel_hi:[1,0]
	v_pk_add_f32 v[28:29], v[28:29], v[12:13]
	v_mov_b32_e32 v5, v3
	v_mov_b32_e32 v3, v7
	ds_write2_b64 v38, v[30:31], v[8:9] offset1:1
	v_mov_b32_e32 v4, v6
	ds_write_b64 v39, v[2:3] offset:16
	v_mul_lo_u16_sdwa v2, v20, s2 dst_sel:DWORD dst_unused:UNUSED_PAD src0_sel:BYTE_0 src1_sel:DWORD
	ds_write2_b64 v39, v[28:29], v[4:5] offset1:1
	v_lshrrev_b16_e32 v28, 9, v2
	v_mul_lo_u16_e32 v2, 3, v28
	v_mov_b32_e32 v0, 4
	v_sub_u16_e32 v44, v20, v2
	v_lshlrev_b32_sdwa v2, v0, v44 dst_sel:DWORD dst_unused:UNUSED_PAD src0_sel:DWORD src1_sel:BYTE_0
	s_waitcnt lgkmcnt(0)
	; wave barrier
	s_waitcnt lgkmcnt(0)
	global_load_dwordx4 v[2:5], v2, s[8:9]
	v_mul_lo_u16_sdwa v6, v22, s2 dst_sel:DWORD dst_unused:UNUSED_PAD src0_sel:BYTE_0 src1_sel:DWORD
	v_lshrrev_b16_e32 v45, 9, v6
	v_mul_lo_u16_e32 v6, 3, v45
	v_sub_u16_e32 v46, v22, v6
	v_lshlrev_b32_sdwa v0, v0, v46 dst_sel:DWORD dst_unused:UNUSED_PAD src0_sel:DWORD src1_sel:BYTE_0
	global_load_dwordx4 v[6:9], v0, s[8:9]
	v_add_u32_e32 v35, -3, v16
	v_cmp_gt_u16_e64 s[2:3], 3, v17
	v_mov_b32_e32 v11, 0
	ds_read2_b64 v[24:27], v23 offset0:30 offset1:36
	v_cndmask_b32_e64 v47, v35, v16, s[2:3]
	v_lshlrev_b32_e32 v10, 1, v47
	v_lshl_add_u64 v[10:11], v[10:11], 3, s[8:9]
	global_load_dwordx4 v[10:13], v[10:11], off
	v_lshlrev_b32_e32 v0, 4, v22
	v_lshlrev_b32_e32 v14, 4, v20
	v_sub_u32_e32 v29, v38, v0
	v_sub_u32_e32 v42, v39, v14
	ds_read2_b64 v[30:33], v23 offset0:18 offset1:24
	ds_read2_b64 v[36:39], v23 offset0:42 offset1:48
	v_cmp_lt_u16_e64 s[4:5], 2, v17
	s_movk_i32 s11, 0x48
	s_waitcnt vmcnt(2) lgkmcnt(2)
	v_pk_mul_f32 v[14:15], v[2:3], v[24:25] op_sel:[0,1]
	s_nop 0
	v_pk_fma_f32 v[40:41], v[2:3], v[24:25], v[14:15] op_sel:[0,0,1] op_sel_hi:[1,1,0]
	v_pk_fma_f32 v[2:3], v[2:3], v[24:25], v[14:15] op_sel:[0,0,1] op_sel_hi:[1,0,0] neg_lo:[1,0,0] neg_hi:[1,0,0]
	v_mov_b32_e32 v0, v5
	v_mov_b32_e32 v41, v3
	ds_read_b64 v[2:3], v42
	s_waitcnt lgkmcnt(1)
	v_pk_mul_f32 v[14:15], v[38:39], v[0:1] op_sel_hi:[1,0]
	v_mov_b32_e32 v0, 0x48
	v_pk_fma_f32 v[42:43], v[38:39], v[4:5], v[14:15] op_sel:[0,0,1] op_sel_hi:[1,1,0]
	v_pk_fma_f32 v[4:5], v[38:39], v[4:5], v[14:15] op_sel:[0,0,1] op_sel_hi:[1,0,0] neg_lo:[0,0,1] neg_hi:[0,0,1]
	s_waitcnt lgkmcnt(0)
	v_pk_add_f32 v[14:15], v[2:3], v[40:41]
	v_mov_b32_e32 v43, v5
	v_cndmask_b32_e64 v0, 0, v0, s[4:5]
	v_pk_add_f32 v[24:25], v[14:15], v[42:43]
	v_add_u32_e32 v0, 0, v0
	v_lshlrev_b32_e32 v14, 3, v47
	v_add3_u32 v0, v0, v14, v1
	v_mad_u32_u24 v14, v45, s11, 0
	v_mov_b32_e32 v45, 3
	v_lshlrev_b32_sdwa v15, v45, v46 dst_sel:DWORD dst_unused:UNUSED_PAD src0_sel:DWORD src1_sel:BYTE_0
	v_add3_u32 v46, v14, v15, v1
	s_waitcnt vmcnt(1)
	v_pk_mul_f32 v[14:15], v[6:7], v[32:33] op_sel:[0,1]
	ds_read_b64 v[4:5], v29
	v_pk_fma_f32 v[38:39], v[6:7], v[32:33], v[14:15] op_sel:[0,0,1] op_sel_hi:[1,1,0]
	v_pk_fma_f32 v[6:7], v[6:7], v[32:33], v[14:15] op_sel:[0,0,1] op_sel_hi:[1,0,0] neg_lo:[1,0,0] neg_hi:[1,0,0]
	s_waitcnt vmcnt(0)
	v_pk_mul_f32 v[32:33], v[10:11], v[30:31] op_sel:[0,1]
	v_mov_b32_e32 v39, v7
	v_pk_mul_f32 v[6:7], v[8:9], v[36:37] op_sel:[0,1]
	s_nop 0
	v_pk_fma_f32 v[14:15], v[8:9], v[36:37], v[6:7] op_sel:[0,0,1] op_sel_hi:[1,1,0]
	v_pk_fma_f32 v[6:7], v[8:9], v[36:37], v[6:7] op_sel:[0,0,1] op_sel_hi:[1,0,0] neg_lo:[1,0,0] neg_hi:[1,0,0]
	v_pk_fma_f32 v[36:37], v[10:11], v[30:31], v[32:33] op_sel:[0,0,1] op_sel_hi:[1,1,0]
	v_mov_b32_e32 v15, v7
	ds_read_b64 v[6:7], v34
	v_pk_fma_f32 v[10:11], v[10:11], v[30:31], v[32:33] op_sel:[0,0,1] op_sel_hi:[1,0,0] neg_lo:[1,0,0] neg_hi:[1,0,0]
	s_waitcnt lgkmcnt(0)
	v_mov_b32_e32 v37, v11
	v_pk_mul_f32 v[10:11], v[12:13], v[26:27] op_sel:[0,1]
	; wave barrier
	s_nop 0
	v_pk_fma_f32 v[30:31], v[12:13], v[26:27], v[10:11] op_sel:[0,0,1] op_sel_hi:[1,1,0]
	v_pk_fma_f32 v[10:11], v[12:13], v[26:27], v[10:11] op_sel:[0,0,1] op_sel_hi:[1,0,0] neg_lo:[1,0,0] neg_hi:[1,0,0]
	v_pk_add_f32 v[8:9], v[4:5], v[38:39]
	v_mov_b32_e32 v31, v11
	v_pk_add_f32 v[12:13], v[36:37], v[30:31]
	v_pk_add_f32 v[10:11], v[6:7], v[36:37]
	v_pk_fma_f32 v[6:7], v[12:13], 0.5, v[6:7] op_sel_hi:[1,0,1] neg_lo:[1,0,0] neg_hi:[1,0,0]
	v_pk_add_f32 v[12:13], v[36:37], v[30:31] neg_lo:[0,1] neg_hi:[0,1]
	v_pk_add_f32 v[10:11], v[10:11], v[30:31]
	v_pk_mul_f32 v[12:13], v[12:13], s[10:11] op_sel_hi:[1,0]
	v_pk_add_f32 v[8:9], v[8:9], v[14:15]
	v_pk_add_f32 v[26:27], v[6:7], v[12:13] op_sel:[0,1] op_sel_hi:[1,0] neg_lo:[0,1] neg_hi:[0,1]
	v_pk_add_f32 v[6:7], v[6:7], v[12:13] op_sel:[0,1] op_sel_hi:[1,0]
	v_mov_b32_e32 v12, v26
	v_mov_b32_e32 v13, v7
	;; [unrolled: 1-line block ×3, first 2 shown]
	ds_write_b64 v0, v[6:7] offset:48
	v_pk_add_f32 v[6:7], v[38:39], v[14:15]
	ds_write2_b64 v0, v[10:11], v[12:13] offset1:3
	v_pk_fma_f32 v[4:5], v[6:7], 0.5, v[4:5] op_sel_hi:[1,0,1] neg_lo:[1,0,0] neg_hi:[1,0,0]
	v_pk_add_f32 v[6:7], v[38:39], v[14:15] neg_lo:[0,1] neg_hi:[0,1]
	v_mad_u32_u24 v0, v28, s11, 0
	v_pk_mul_f32 v[6:7], v[6:7], s[10:11] op_sel_hi:[1,0]
                                        ; implicit-def: $vgpr28
	s_nop 0
	v_pk_add_f32 v[10:11], v[4:5], v[6:7] op_sel:[0,1] op_sel_hi:[1,0] neg_lo:[0,1] neg_hi:[0,1]
	v_pk_add_f32 v[4:5], v[4:5], v[6:7] op_sel:[0,1] op_sel_hi:[1,0]
	v_mov_b32_e32 v6, v10
	v_mov_b32_e32 v7, v5
	;; [unrolled: 1-line block ×3, first 2 shown]
	ds_write_b64 v46, v[4:5] offset:48
	v_lshlrev_b32_sdwa v4, v45, v44 dst_sel:DWORD dst_unused:UNUSED_PAD src0_sel:DWORD src1_sel:BYTE_0
	ds_write2_b64 v46, v[8:9], v[6:7] offset1:3
	v_add3_u32 v6, v0, v4, v1
	v_pk_add_f32 v[0:1], v[40:41], v[42:43]
	s_nop 0
	v_pk_fma_f32 v[0:1], v[0:1], 0.5, v[2:3] op_sel_hi:[1,0,1] neg_lo:[1,0,0] neg_hi:[1,0,0]
	v_pk_add_f32 v[2:3], v[40:41], v[42:43] neg_lo:[0,1] neg_hi:[0,1]
	s_nop 0
	v_pk_mul_f32 v[4:5], v[2:3], s[10:11] op_sel_hi:[1,0]
	s_nop 0
	v_pk_add_f32 v[2:3], v[0:1], v[4:5] op_sel:[0,1] op_sel_hi:[1,0] neg_lo:[0,1] neg_hi:[0,1]
	v_pk_add_f32 v[26:27], v[0:1], v[4:5] op_sel:[0,1] op_sel_hi:[1,0]
	v_mov_b32_e32 v0, v2
	v_mov_b32_e32 v1, v27
	ds_write2_b64 v6, v[24:25], v[0:1] offset1:3
	v_mov_b32_e32 v0, v26
	v_mov_b32_e32 v1, v3
	ds_write_b64 v6, v[0:1] offset:48
	s_waitcnt lgkmcnt(0)
	; wave barrier
	s_waitcnt lgkmcnt(0)
	ds_read2_b64 v[12:15], v23 offset0:9 offset1:18
	ds_read2_b64 v[8:11], v23 offset0:27 offset1:36
	ds_read_b64 v[30:31], v34
	ds_read_b64 v[32:33], v23 offset:360
                                        ; implicit-def: $vgpr6
	s_and_saveexec_b64 s[4:5], s[2:3]
	s_cbranch_execz .LBB0_6
; %bb.5:
	ds_read2_b64 v[0:3], v23 offset0:15 offset1:24
	ds_read2_b64 v[4:7], v23 offset0:33 offset1:42
	ds_read_b64 v[24:25], v29
	ds_read_b64 v[28:29], v23 offset:408
	v_mov_b32_e32 v35, v22
	s_waitcnt lgkmcnt(3)
	v_mov_b32_e32 v26, v2
	v_mov_b32_e32 v27, v1
	v_mov_b32_e32 v2, v0
.LBB0_6:
	s_or_b64 exec, exec, s[4:5]
	v_mul_u32_u24_e32 v0, 5, v16
	v_lshlrev_b32_e32 v44, 3, v0
	global_load_dwordx4 v[36:39], v44, s[8:9] offset:48
	global_load_dwordx4 v[40:43], v44, s[8:9] offset:64
	global_load_dwordx2 v[0:1], v44, s[8:9] offset:80
	s_mov_b32 s12, 0.5
	s_mov_b32 s13, s10
	s_mov_b32 s4, -0.5
	s_mov_b32 s5, s10
	s_waitcnt lgkmcnt(0)
	; wave barrier
	s_waitcnt vmcnt(2) lgkmcnt(0)
	v_pk_mul_f32 v[44:45], v[36:37], v[12:13] op_sel:[0,1]
	v_pk_mul_f32 v[46:47], v[38:39], v[14:15] op_sel:[0,1]
	s_waitcnt vmcnt(1)
	v_pk_mul_f32 v[48:49], v[40:41], v[8:9] op_sel:[0,1]
	v_pk_mul_f32 v[50:51], v[42:43], v[10:11] op_sel:[0,1]
	s_waitcnt vmcnt(0)
	v_pk_mul_f32 v[52:53], v[0:1], v[32:33] op_sel:[0,1]
	v_pk_fma_f32 v[54:55], v[36:37], v[12:13], v[44:45] op_sel:[0,0,1] op_sel_hi:[1,0,0]
	v_pk_fma_f32 v[12:13], v[36:37], v[12:13], v[44:45] op_sel:[0,0,1] op_sel_hi:[1,0,0] neg_lo:[1,0,0] neg_hi:[1,0,0]
	v_pk_fma_f32 v[36:37], v[38:39], v[14:15], v[46:47] op_sel:[0,0,1] op_sel_hi:[1,1,0]
	v_pk_fma_f32 v[14:15], v[38:39], v[14:15], v[46:47] op_sel:[0,0,1] op_sel_hi:[1,0,0] neg_lo:[1,0,0] neg_hi:[1,0,0]
	;; [unrolled: 2-line block ×5, first 2 shown]
	v_mov_b32_e32 v39, v9
	v_mov_b32_e32 v43, v1
	;; [unrolled: 1-line block ×5, first 2 shown]
	v_pk_add_f32 v[10:11], v[38:39], v[42:43]
	v_mov_b32_e32 v0, v54
	v_pk_add_f32 v[8:9], v[30:31], v[36:37]
	v_pk_add_f32 v[14:15], v[38:39], v[42:43] neg_lo:[0,1] neg_hi:[0,1]
	v_pk_add_f32 v[32:33], v[54:55], v[38:39]
	v_pk_add_f32 v[38:39], v[36:37], v[40:41]
	v_pk_add_f32 v[36:37], v[36:37], v[40:41] neg_lo:[0,1] neg_hi:[0,1]
	v_fmac_f32_e32 v13, -0.5, v11
	v_pk_add_f32 v[8:9], v[8:9], v[40:41]
	v_fmac_f32_e32 v0, -0.5, v10
	v_pk_add_f32 v[32:33], v[32:33], v[42:43]
	v_pk_fma_f32 v[10:11], -0.5, v[38:39], v[30:31] op_sel_hi:[0,1,1]
	v_pk_mul_f32 v[30:31], v[36:37], s[10:11] op_sel_hi:[1,0]
	s_mov_b32 s11, s12
	v_fmamk_f32 v36, v14, 0x3f5db3d7, v13
	v_fmamk_f32 v12, v15, 0xbf5db3d7, v0
	v_fmac_f32_e32 v0, 0x3f5db3d7, v15
	v_fmac_f32_e32 v13, 0xbf5db3d7, v14
	v_pk_add_f32 v[14:15], v[8:9], v[32:33]
	v_pk_add_f32 v[38:39], v[10:11], v[30:31] op_sel:[0,1] op_sel_hi:[1,0] neg_lo:[0,1] neg_hi:[0,1]
	v_pk_add_f32 v[10:11], v[10:11], v[30:31] op_sel:[0,1] op_sel_hi:[1,0]
	v_pk_add_f32 v[8:9], v[8:9], v[32:33] neg_lo:[0,1] neg_hi:[0,1]
	v_pk_mul_f32 v[32:33], v[36:37], s[10:11] op_sel_hi:[0,1]
	v_mov_b32_e32 v30, v38
	v_mov_b32_e32 v31, v11
	;; [unrolled: 1-line block ×4, first 2 shown]
	v_pk_fma_f32 v[38:39], v[12:13], s[12:13], v[32:33] neg_lo:[0,0,1] neg_hi:[0,0,1]
	v_pk_fma_f32 v[12:13], v[12:13], s[12:13], v[32:33] op_sel_hi:[0,1,1]
	v_pk_mul_f32 v[32:33], v[36:37], s[10:11] op_sel_hi:[0,1]
	v_mov_b32_e32 v39, v13
	v_pk_fma_f32 v[0:1], v[0:1], s[4:5], v[32:33] op_sel_hi:[0,1,1] neg_lo:[0,0,1] neg_hi:[0,0,1]
	v_pk_add_f32 v[12:13], v[30:31], v[38:39]
	v_pk_add_f32 v[32:33], v[10:11], v[0:1]
	v_pk_add_f32 v[30:31], v[30:31], v[38:39] neg_lo:[0,1] neg_hi:[0,1]
	v_pk_add_f32 v[0:1], v[10:11], v[0:1] neg_lo:[0,1] neg_hi:[0,1]
	ds_write2_b64 v23, v[14:15], v[12:13] offset1:9
	ds_write2_b64 v23, v[32:33], v[8:9] offset0:18 offset1:27
	ds_write2_b64 v23, v[30:31], v[0:1] offset0:36 offset1:45
	s_and_saveexec_b64 s[10:11], s[2:3]
	s_cbranch_execz .LBB0_8
; %bb.7:
	v_mul_i32_i24_e32 v0, 5, v35
	v_mov_b32_e32 v1, 0
	v_lshl_add_u64 v[0:1], v[0:1], 3, s[8:9]
	global_load_dwordx4 v[8:11], v[0:1], off offset:48
	global_load_dwordx4 v[12:15], v[0:1], off offset:64
	global_load_dwordx2 v[30:31], v[0:1], off offset:80
	v_mov_b32_e32 v0, v3
	v_mov_b32_e32 v32, v7
	;; [unrolled: 1-line block ×5, first 2 shown]
	s_mov_b32 s2, 0x3f5db3d7
	s_mov_b32 s13, s2
	;; [unrolled: 1-line block ×3, first 2 shown]
	s_waitcnt vmcnt(2)
	v_pk_mul_f32 v[0:1], v[0:1], v[10:11] op_sel_hi:[0,1]
	s_waitcnt vmcnt(1)
	v_pk_mul_f32 v[32:33], v[32:33], v[14:15] op_sel_hi:[0,1]
	v_pk_mul_f32 v[38:39], v[38:39], v[12:13] op_sel_hi:[0,1]
	s_waitcnt vmcnt(0)
	v_pk_mul_f32 v[40:41], v[40:41], v[30:31] op_sel_hi:[0,1]
	v_pk_mul_f32 v[36:37], v[36:37], v[8:9] op_sel_hi:[0,1]
	v_pk_fma_f32 v[42:43], v[26:27], v[10:11], v[0:1] op_sel:[0,0,1] op_sel_hi:[1,1,0]
	v_pk_fma_f32 v[0:1], v[26:27], v[10:11], v[0:1] op_sel:[0,0,1] op_sel_hi:[0,1,0] neg_lo:[1,0,0] neg_hi:[1,0,0]
	v_pk_fma_f32 v[10:11], v[6:7], v[14:15], v[32:33] op_sel:[0,0,1] op_sel_hi:[1,1,0]
	v_pk_fma_f32 v[6:7], v[6:7], v[14:15], v[32:33] op_sel:[0,0,1] op_sel_hi:[0,1,0] neg_lo:[1,0,0] neg_hi:[1,0,0]
	;; [unrolled: 2-line block ×5, first 2 shown]
	v_mov_b32_e32 v15, v5
	v_mov_b32_e32 v13, v27
	;; [unrolled: 1-line block ×5, first 2 shown]
	v_pk_add_f32 v[4:5], v[14:15], v[12:13]
	v_mov_b32_e32 v0, v28
	v_pk_add_f32 v[6:7], v[14:15], v[12:13] neg_lo:[0,1] neg_hi:[0,1]
	v_pk_add_f32 v[8:9], v[24:25], v[42:43]
	v_pk_add_f32 v[14:15], v[28:29], v[14:15]
	;; [unrolled: 1-line block ×3, first 2 shown]
	v_pk_add_f32 v[28:29], v[42:43], v[10:11] neg_lo:[0,1] neg_hi:[0,1]
	v_fmac_f32_e32 v3, -0.5, v5
	v_fmac_f32_e32 v0, -0.5, v4
	v_pk_add_f32 v[4:5], v[8:9], v[10:11]
	v_pk_add_f32 v[8:9], v[14:15], v[12:13]
	v_pk_fma_f32 v[10:11], -0.5, v[26:27], v[24:25] op_sel_hi:[0,1,1]
	v_pk_mul_f32 v[12:13], v[28:29], s[2:3] op_sel_hi:[1,0]
	v_fmamk_f32 v14, v6, 0xbf5db3d7, v3
	v_fmac_f32_e32 v3, 0x3f5db3d7, v6
	s_mov_b32 s3, s12
	v_pk_add_f32 v[24:25], v[10:11], v[12:13] op_sel:[0,1] op_sel_hi:[1,0] neg_lo:[0,1] neg_hi:[0,1]
	v_pk_add_f32 v[10:11], v[10:11], v[12:13] op_sel:[0,1] op_sel_hi:[1,0]
	v_mov_b32_e32 v12, v3
	v_fmamk_f32 v2, v7, 0x3f5db3d7, v0
	v_fmac_f32_e32 v0, 0xbf5db3d7, v7
	v_pk_mul_f32 v[14:15], v[14:15], s[2:3] op_sel_hi:[0,1]
	v_pk_mul_f32 v[12:13], v[12:13], s[2:3] op_sel_hi:[0,1]
	v_pk_fma_f32 v[2:3], v[2:3], s[4:5], v[14:15] op_sel_hi:[0,1,1] neg_lo:[0,0,1] neg_hi:[0,0,1]
	v_pk_fma_f32 v[14:15], v[0:1], s[12:13], v[12:13] neg_lo:[0,0,1] neg_hi:[0,0,1]
	v_pk_fma_f32 v[0:1], v[0:1], s[12:13], v[12:13] op_sel_hi:[0,1,1]
	v_pk_add_f32 v[6:7], v[4:5], v[8:9]
	v_pk_add_f32 v[4:5], v[4:5], v[8:9] neg_lo:[0,1] neg_hi:[0,1]
	v_mov_b32_e32 v8, v24
	v_mov_b32_e32 v9, v11
	;; [unrolled: 1-line block ×4, first 2 shown]
	v_pk_add_f32 v[12:13], v[10:11], v[2:3]
	v_pk_add_f32 v[0:1], v[8:9], v[14:15]
	v_pk_add_f32 v[2:3], v[10:11], v[2:3] neg_lo:[0,1] neg_hi:[0,1]
	ds_write2_b64 v23, v[12:13], v[4:5] offset0:24 offset1:33
	v_pk_add_f32 v[4:5], v[8:9], v[14:15] neg_lo:[0,1] neg_hi:[0,1]
	ds_write2_b64 v23, v[6:7], v[0:1] offset0:6 offset1:15
	ds_write2_b64 v23, v[4:5], v[2:3] offset0:42 offset1:51
.LBB0_8:
	s_or_b64 exec, exec, s[10:11]
	s_waitcnt lgkmcnt(0)
	; wave barrier
	s_waitcnt lgkmcnt(0)
	ds_read_b64 v[4:5], v34
	v_sub_u32_e32 v6, v19, v21
	v_cmp_ne_u16_e64 s[2:3], 0, v17
                                        ; implicit-def: $vgpr2_vgpr3
                                        ; implicit-def: $vgpr1
	s_and_saveexec_b64 s[4:5], s[2:3]
	s_xor_b64 s[2:3], exec, s[4:5]
	s_cbranch_execz .LBB0_10
; %bb.9:
	v_mov_b32_e32 v0, 3
	v_lshlrev_b32_sdwa v0, v0, v17 dst_sel:DWORD dst_unused:UNUSED_PAD src0_sel:DWORD src1_sel:WORD_0
	global_load_dwordx2 v[2:3], v0, s[8:9] offset:408
	ds_read_b64 v[0:1], v6 offset:432
	v_mov_b32_e32 v9, 0.5
	v_mov_b32_e32 v10, v9
	s_waitcnt lgkmcnt(0)
	v_pk_add_f32 v[12:13], v[0:1], v[4:5]
	v_pk_add_f32 v[0:1], v[4:5], v[0:1] neg_lo:[0,1] neg_hi:[0,1]
	v_mov_b32_e32 v4, v13
	v_mov_b32_e32 v5, v0
	v_pk_mul_f32 v[4:5], v[4:5], 0.5 op_sel_hi:[1,0]
	s_waitcnt vmcnt(0)
	v_mov_b32_e32 v8, v3
	v_mov_b32_e32 v0, v5
	;; [unrolled: 1-line block ×4, first 2 shown]
	v_pk_mul_f32 v[0:1], v[8:9], v[0:1]
	v_pk_mul_f32 v[14:15], v[2:3], v[4:5] op_sel_hi:[0,1]
	v_pk_fma_f32 v[8:9], v[12:13], v[10:11], v[0:1]
	v_pk_fma_f32 v[10:11], v[12:13], v[10:11], v[0:1] neg_lo:[0,0,1] neg_hi:[0,0,1]
	v_add_f32_e32 v0, v14, v8
	v_sub_f32_e32 v1, v9, v15
	ds_write_b32 v34, v0
	v_pk_fma_f32 v[2:3], v[2:3], v[4:5], v[10:11] op_sel_hi:[0,1,1] neg_lo:[1,0,0] neg_hi:[1,0,0]
                                        ; implicit-def: $vgpr4_vgpr5
.LBB0_10:
	s_andn2_saveexec_b64 s[2:3], s[2:3]
	s_cbranch_execz .LBB0_12
; %bb.11:
	ds_read_b32 v2, v19 offset:220
	s_waitcnt lgkmcnt(1)
	v_mov_b32_e32 v0, v5
	v_add_f32_e32 v1, v5, v4
	ds_write_b32 v34, v1
	v_pk_add_f32 v[0:1], v[4:5], v[0:1] neg_lo:[0,1] neg_hi:[0,1]
	s_waitcnt lgkmcnt(1)
	v_xor_b32_e32 v1, 0x80000000, v2
	ds_write_b32 v19, v1 offset:220
	v_mov_b32_e32 v1, 0
	v_mov_b64_e32 v[2:3], v[0:1]
.LBB0_12:
	s_or_b64 exec, exec, s[2:3]
	v_mov_b32_e32 v23, 0
	s_waitcnt lgkmcnt(0)
	v_lshl_add_u64 v[4:5], v[22:23], 3, s[8:9]
	global_load_dwordx2 v[8:9], v[4:5], off offset:408
	v_mov_b32_e32 v21, v23
	v_lshl_add_u64 v[4:5], v[20:21], 3, s[8:9]
	global_load_dwordx2 v[10:11], v[4:5], off offset:408
	s_add_u32 s2, s8, 0x198
	s_addc_u32 s3, s9, 0
	v_mov_b32_e32 v17, v23
	v_lshl_add_u64 v[4:5], v[16:17], 3, s[2:3]
	global_load_dwordx2 v[12:13], v[4:5], off offset:144
	ds_write_b32 v34, v1 offset:4
	ds_write_b64 v6, v[2:3] offset:432
	v_lshl_add_u32 v7, v22, 3, v19
	ds_read_b64 v[2:3], v7
	ds_read_b64 v[14:15], v6 offset:384
	v_mov_b32_e32 v1, 0.5
	v_lshl_add_u32 v17, v20, 3, v19
	v_mov_b32_e32 v20, v1
	s_waitcnt lgkmcnt(0)
	v_pk_add_f32 v[22:23], v[2:3], v[14:15]
	v_pk_add_f32 v[2:3], v[2:3], v[14:15] neg_lo:[0,1] neg_hi:[0,1]
	v_mov_b32_e32 v14, v23
	v_mov_b32_e32 v15, v2
	v_pk_mul_f32 v[14:15], v[14:15], 0.5 op_sel_hi:[1,0]
	s_waitcnt vmcnt(2)
	v_mov_b32_e32 v0, v9
	v_mov_b32_e32 v2, v15
	;; [unrolled: 1-line block ×4, first 2 shown]
	v_pk_mul_f32 v[2:3], v[0:1], v[2:3]
	s_waitcnt vmcnt(1)
	v_mov_b32_e32 v0, v11
	v_pk_fma_f32 v[24:25], v[22:23], v[20:21], v[2:3]
	v_pk_fma_f32 v[2:3], v[22:23], v[20:21], v[2:3] neg_lo:[0,0,1] neg_hi:[0,0,1]
	v_pk_fma_f32 v[20:21], v[8:9], v[14:15], v[24:25]
	v_pk_fma_f32 v[22:23], v[8:9], v[14:15], v[24:25] op_sel_hi:[0,1,1] neg_lo:[1,0,0] neg_hi:[1,0,0]
	v_mov_b32_e32 v21, v23
	v_pk_fma_f32 v[2:3], v[8:9], v[14:15], v[2:3] op_sel_hi:[0,1,1] neg_lo:[1,0,0] neg_hi:[1,0,0]
	ds_write_b64 v7, v[20:21]
	ds_write_b64 v6, v[2:3] offset:384
	ds_read_b64 v[2:3], v17
	ds_read_b64 v[8:9], v6 offset:336
	v_mov_b32_e32 v14, v1
	v_mov_b32_e32 v15, v11
	v_or_b32_e32 v7, 24, v16
	v_cmp_gt_u32_e64 s[2:3], 27, v7
	s_waitcnt lgkmcnt(0)
	v_pk_add_f32 v[20:21], v[2:3], v[8:9]
	v_pk_add_f32 v[2:3], v[2:3], v[8:9] neg_lo:[0,1] neg_hi:[0,1]
	v_mov_b32_e32 v8, v21
	v_mov_b32_e32 v9, v2
	v_pk_mul_f32 v[8:9], v[8:9], 0.5 op_sel_hi:[1,0]
	s_nop 0
	v_mov_b32_e32 v2, v9
	v_mov_b32_e32 v21, v8
	v_pk_mul_f32 v[2:3], v[0:1], v[2:3]
	s_waitcnt vmcnt(0)
	v_mov_b32_e32 v0, v13
	v_pk_fma_f32 v[22:23], v[20:21], v[14:15], v[2:3]
	v_pk_fma_f32 v[2:3], v[20:21], v[14:15], v[2:3] neg_lo:[0,0,1] neg_hi:[0,0,1]
	v_pk_fma_f32 v[14:15], v[10:11], v[8:9], v[22:23]
	v_pk_fma_f32 v[20:21], v[10:11], v[8:9], v[22:23] op_sel_hi:[0,1,1] neg_lo:[1,0,0] neg_hi:[1,0,0]
	v_mov_b32_e32 v15, v21
	v_pk_fma_f32 v[2:3], v[10:11], v[8:9], v[2:3] op_sel_hi:[0,1,1] neg_lo:[1,0,0] neg_hi:[1,0,0]
	ds_write_b64 v17, v[14:15]
	ds_write_b64 v6, v[2:3] offset:336
	ds_read_b64 v[2:3], v34 offset:144
	ds_read_b64 v[8:9], v6 offset:288
	v_mov_b32_e32 v10, v1
	v_mov_b32_e32 v11, v13
	s_waitcnt lgkmcnt(0)
	v_pk_add_f32 v[14:15], v[2:3], v[8:9]
	v_pk_add_f32 v[2:3], v[2:3], v[8:9] neg_lo:[0,1] neg_hi:[0,1]
	v_mov_b32_e32 v8, v15
	v_mov_b32_e32 v9, v2
	v_pk_mul_f32 v[8:9], v[8:9], 0.5 op_sel_hi:[1,0]
	s_nop 0
	v_mov_b32_e32 v2, v9
	v_mov_b32_e32 v15, v8
	v_pk_mul_f32 v[2:3], v[0:1], v[2:3]
	s_nop 0
	v_pk_fma_f32 v[20:21], v[14:15], v[10:11], v[2:3]
	v_pk_fma_f32 v[2:3], v[14:15], v[10:11], v[2:3] neg_lo:[0,0,1] neg_hi:[0,0,1]
	v_pk_fma_f32 v[10:11], v[12:13], v[8:9], v[20:21]
	v_pk_fma_f32 v[14:15], v[12:13], v[8:9], v[20:21] op_sel_hi:[0,1,1] neg_lo:[1,0,0] neg_hi:[1,0,0]
	v_mov_b32_e32 v11, v15
	v_pk_fma_f32 v[2:3], v[12:13], v[8:9], v[2:3] op_sel_hi:[0,1,1] neg_lo:[1,0,0] neg_hi:[1,0,0]
	ds_write_b64 v34, v[10:11] offset:144
	ds_write_b64 v6, v[2:3] offset:288
	s_and_saveexec_b64 s[4:5], s[2:3]
	s_cbranch_execz .LBB0_14
; %bb.13:
	global_load_dwordx2 v[2:3], v[4:5], off offset:192
	ds_read_b64 v[4:5], v34 offset:192
	ds_read_b64 v[8:9], v6 offset:240
	v_mov_b32_e32 v10, v1
	s_waitcnt lgkmcnt(0)
	v_pk_add_f32 v[12:13], v[4:5], v[8:9]
	v_pk_add_f32 v[4:5], v[4:5], v[8:9] neg_lo:[0,1] neg_hi:[0,1]
	v_mov_b32_e32 v8, v13
	v_mov_b32_e32 v9, v4
	v_pk_mul_f32 v[8:9], v[8:9], 0.5 op_sel_hi:[1,0]
	s_waitcnt vmcnt(0)
	v_mov_b32_e32 v0, v3
	v_mov_b32_e32 v4, v9
	;; [unrolled: 1-line block ×4, first 2 shown]
	v_pk_mul_f32 v[0:1], v[0:1], v[4:5]
	s_nop 0
	v_pk_fma_f32 v[4:5], v[12:13], v[10:11], v[0:1]
	v_pk_fma_f32 v[0:1], v[12:13], v[10:11], v[0:1] neg_lo:[0,0,1] neg_hi:[0,0,1]
	v_pk_fma_f32 v[10:11], v[2:3], v[8:9], v[4:5]
	v_pk_fma_f32 v[4:5], v[2:3], v[8:9], v[4:5] op_sel_hi:[0,1,1] neg_lo:[1,0,0] neg_hi:[1,0,0]
	v_mov_b32_e32 v11, v5
	v_pk_fma_f32 v[0:1], v[2:3], v[8:9], v[0:1] op_sel_hi:[0,1,1] neg_lo:[1,0,0] neg_hi:[1,0,0]
	ds_write_b64 v34, v[10:11] offset:192
	ds_write_b64 v6, v[0:1] offset:240
.LBB0_14:
	s_or_b64 exec, exec, s[4:5]
	s_waitcnt lgkmcnt(0)
	; wave barrier
	s_waitcnt lgkmcnt(0)
	s_and_saveexec_b64 s[2:3], vcc
	s_cbranch_execz .LBB0_17
; %bb.15:
	v_mad_u64_u32 v[0:1], s[2:3], s6, v18, 0
	s_load_dwordx2 s[0:1], s[0:1], 0x58
	v_mov_b32_e32 v2, v1
	v_mad_u64_u32 v[8:9], s[2:3], s7, v18, v[2:3]
	v_lshl_add_u32 v2, v16, 3, v19
	ds_read2_b64 v[4:7], v2 offset1:6
	v_mov_b32_e32 v1, v8
	v_mov_b32_e32 v17, 0
	s_waitcnt lgkmcnt(0)
	v_lshl_add_u64 v[0:1], v[0:1], 3, s[0:1]
	v_lshl_add_u64 v[8:9], v[16:17], 3, v[0:1]
	global_store_dwordx2 v[8:9], v[4:5], off
	ds_read2_b64 v[8:11], v2 offset0:12 offset1:18
	v_add_u32_e32 v4, 6, v16
	v_mov_b32_e32 v5, v17
	v_lshl_add_u64 v[4:5], v[4:5], 3, v[0:1]
	global_store_dwordx2 v[4:5], v[6:7], off
	v_add_u32_e32 v4, 12, v16
	v_mov_b32_e32 v5, v17
	v_lshl_add_u64 v[4:5], v[4:5], 3, v[0:1]
	s_waitcnt lgkmcnt(0)
	global_store_dwordx2 v[4:5], v[8:9], off
	v_add_u32_e32 v4, 18, v16
	v_mov_b32_e32 v5, v17
	v_lshl_add_u64 v[8:9], v[4:5], 3, v[0:1]
	ds_read2_b64 v[4:7], v2 offset0:24 offset1:30
	global_store_dwordx2 v[8:9], v[10:11], off
	v_add_u32_e32 v8, 24, v16
	v_mov_b32_e32 v9, v17
	v_lshl_add_u64 v[8:9], v[8:9], 3, v[0:1]
	s_waitcnt lgkmcnt(0)
	global_store_dwordx2 v[8:9], v[4:5], off
	ds_read2_b64 v[8:11], v2 offset0:36 offset1:42
	v_add_u32_e32 v4, 30, v16
	v_mov_b32_e32 v5, v17
	v_lshl_add_u64 v[4:5], v[4:5], 3, v[0:1]
	global_store_dwordx2 v[4:5], v[6:7], off
	v_add_u32_e32 v4, 36, v16
	v_mov_b32_e32 v5, v17
	v_lshl_add_u64 v[4:5], v[4:5], 3, v[0:1]
	ds_read_b64 v[6:7], v2 offset:384
	s_waitcnt lgkmcnt(1)
	global_store_dwordx2 v[4:5], v[8:9], off
	v_add_u32_e32 v4, 42, v16
	v_mov_b32_e32 v5, v17
	v_lshl_add_u64 v[4:5], v[4:5], 3, v[0:1]
	global_store_dwordx2 v[4:5], v[10:11], off
	v_add_u32_e32 v4, 48, v16
	v_mov_b32_e32 v5, v17
	v_lshl_add_u64 v[4:5], v[4:5], 3, v[0:1]
	v_cmp_eq_u32_e32 vcc, 5, v16
	s_waitcnt lgkmcnt(0)
	global_store_dwordx2 v[4:5], v[6:7], off
	s_and_b64 exec, exec, vcc
	s_cbranch_execz .LBB0_17
; %bb.16:
	ds_read_b64 v[2:3], v2 offset:392
	s_waitcnt lgkmcnt(0)
	global_store_dwordx2 v[0:1], v[2:3], off offset:432
.LBB0_17:
	s_endpgm
	.section	.rodata,"a",@progbits
	.p2align	6, 0x0
	.amdhsa_kernel fft_rtc_back_len54_factors_3_3_6_wgs_60_tpt_6_dim1_sp_op_CI_CI_unitstride_sbrr_R2C_dirReg
		.amdhsa_group_segment_fixed_size 0
		.amdhsa_private_segment_fixed_size 0
		.amdhsa_kernarg_size 96
		.amdhsa_user_sgpr_count 2
		.amdhsa_user_sgpr_dispatch_ptr 0
		.amdhsa_user_sgpr_queue_ptr 0
		.amdhsa_user_sgpr_kernarg_segment_ptr 1
		.amdhsa_user_sgpr_dispatch_id 0
		.amdhsa_user_sgpr_kernarg_preload_length 0
		.amdhsa_user_sgpr_kernarg_preload_offset 0
		.amdhsa_user_sgpr_private_segment_size 0
		.amdhsa_uses_dynamic_stack 0
		.amdhsa_enable_private_segment 0
		.amdhsa_system_sgpr_workgroup_id_x 1
		.amdhsa_system_sgpr_workgroup_id_y 0
		.amdhsa_system_sgpr_workgroup_id_z 0
		.amdhsa_system_sgpr_workgroup_info 0
		.amdhsa_system_vgpr_workitem_id 0
		.amdhsa_next_free_vgpr 56
		.amdhsa_next_free_sgpr 14
		.amdhsa_accum_offset 56
		.amdhsa_reserve_vcc 1
		.amdhsa_float_round_mode_32 0
		.amdhsa_float_round_mode_16_64 0
		.amdhsa_float_denorm_mode_32 3
		.amdhsa_float_denorm_mode_16_64 3
		.amdhsa_dx10_clamp 1
		.amdhsa_ieee_mode 1
		.amdhsa_fp16_overflow 0
		.amdhsa_tg_split 0
		.amdhsa_exception_fp_ieee_invalid_op 0
		.amdhsa_exception_fp_denorm_src 0
		.amdhsa_exception_fp_ieee_div_zero 0
		.amdhsa_exception_fp_ieee_overflow 0
		.amdhsa_exception_fp_ieee_underflow 0
		.amdhsa_exception_fp_ieee_inexact 0
		.amdhsa_exception_int_div_zero 0
	.end_amdhsa_kernel
	.text
.Lfunc_end0:
	.size	fft_rtc_back_len54_factors_3_3_6_wgs_60_tpt_6_dim1_sp_op_CI_CI_unitstride_sbrr_R2C_dirReg, .Lfunc_end0-fft_rtc_back_len54_factors_3_3_6_wgs_60_tpt_6_dim1_sp_op_CI_CI_unitstride_sbrr_R2C_dirReg
                                        ; -- End function
	.section	.AMDGPU.csdata,"",@progbits
; Kernel info:
; codeLenInByte = 4076
; NumSgprs: 20
; NumVgprs: 56
; NumAgprs: 0
; TotalNumVgprs: 56
; ScratchSize: 0
; MemoryBound: 0
; FloatMode: 240
; IeeeMode: 1
; LDSByteSize: 0 bytes/workgroup (compile time only)
; SGPRBlocks: 2
; VGPRBlocks: 6
; NumSGPRsForWavesPerEU: 20
; NumVGPRsForWavesPerEU: 56
; AccumOffset: 56
; Occupancy: 8
; WaveLimiterHint : 1
; COMPUTE_PGM_RSRC2:SCRATCH_EN: 0
; COMPUTE_PGM_RSRC2:USER_SGPR: 2
; COMPUTE_PGM_RSRC2:TRAP_HANDLER: 0
; COMPUTE_PGM_RSRC2:TGID_X_EN: 1
; COMPUTE_PGM_RSRC2:TGID_Y_EN: 0
; COMPUTE_PGM_RSRC2:TGID_Z_EN: 0
; COMPUTE_PGM_RSRC2:TIDIG_COMP_CNT: 0
; COMPUTE_PGM_RSRC3_GFX90A:ACCUM_OFFSET: 13
; COMPUTE_PGM_RSRC3_GFX90A:TG_SPLIT: 0
	.text
	.p2alignl 6, 3212836864
	.fill 256, 4, 3212836864
	.type	__hip_cuid_4ccae5669ff51e0a,@object ; @__hip_cuid_4ccae5669ff51e0a
	.section	.bss,"aw",@nobits
	.globl	__hip_cuid_4ccae5669ff51e0a
__hip_cuid_4ccae5669ff51e0a:
	.byte	0                               ; 0x0
	.size	__hip_cuid_4ccae5669ff51e0a, 1

	.ident	"AMD clang version 19.0.0git (https://github.com/RadeonOpenCompute/llvm-project roc-6.4.0 25133 c7fe45cf4b819c5991fe208aaa96edf142730f1d)"
	.section	".note.GNU-stack","",@progbits
	.addrsig
	.addrsig_sym __hip_cuid_4ccae5669ff51e0a
	.amdgpu_metadata
---
amdhsa.kernels:
  - .agpr_count:     0
    .args:
      - .actual_access:  read_only
        .address_space:  global
        .offset:         0
        .size:           8
        .value_kind:     global_buffer
      - .actual_access:  read_only
        .address_space:  global
        .offset:         8
        .size:           8
        .value_kind:     global_buffer
      - .actual_access:  read_only
        .address_space:  global
        .offset:         16
        .size:           8
        .value_kind:     global_buffer
      - .actual_access:  read_only
        .address_space:  global
        .offset:         24
        .size:           8
        .value_kind:     global_buffer
      - .offset:         32
        .size:           8
        .value_kind:     by_value
      - .actual_access:  read_only
        .address_space:  global
        .offset:         40
        .size:           8
        .value_kind:     global_buffer
      - .actual_access:  read_only
        .address_space:  global
        .offset:         48
        .size:           8
        .value_kind:     global_buffer
      - .offset:         56
        .size:           4
        .value_kind:     by_value
      - .actual_access:  read_only
        .address_space:  global
        .offset:         64
        .size:           8
        .value_kind:     global_buffer
      - .actual_access:  read_only
        .address_space:  global
        .offset:         72
        .size:           8
        .value_kind:     global_buffer
      - .actual_access:  read_only
        .address_space:  global
        .offset:         80
        .size:           8
        .value_kind:     global_buffer
      - .actual_access:  write_only
        .address_space:  global
        .offset:         88
        .size:           8
        .value_kind:     global_buffer
    .group_segment_fixed_size: 0
    .kernarg_segment_align: 8
    .kernarg_segment_size: 96
    .language:       OpenCL C
    .language_version:
      - 2
      - 0
    .max_flat_workgroup_size: 60
    .name:           fft_rtc_back_len54_factors_3_3_6_wgs_60_tpt_6_dim1_sp_op_CI_CI_unitstride_sbrr_R2C_dirReg
    .private_segment_fixed_size: 0
    .sgpr_count:     20
    .sgpr_spill_count: 0
    .symbol:         fft_rtc_back_len54_factors_3_3_6_wgs_60_tpt_6_dim1_sp_op_CI_CI_unitstride_sbrr_R2C_dirReg.kd
    .uniform_work_group_size: 1
    .uses_dynamic_stack: false
    .vgpr_count:     56
    .vgpr_spill_count: 0
    .wavefront_size: 64
amdhsa.target:   amdgcn-amd-amdhsa--gfx950
amdhsa.version:
  - 1
  - 2
...

	.end_amdgpu_metadata
